;; amdgpu-corpus repo=ROCm/rocFFT kind=compiled arch=gfx1201 opt=O3
	.text
	.amdgcn_target "amdgcn-amd-amdhsa--gfx1201"
	.amdhsa_code_object_version 6
	.protected	fft_rtc_fwd_len936_factors_2_2_13_2_3_3_wgs_234_tpt_78_halfLds_dp_ip_CI_unitstride_sbrr_C2R_dirReg ; -- Begin function fft_rtc_fwd_len936_factors_2_2_13_2_3_3_wgs_234_tpt_78_halfLds_dp_ip_CI_unitstride_sbrr_C2R_dirReg
	.globl	fft_rtc_fwd_len936_factors_2_2_13_2_3_3_wgs_234_tpt_78_halfLds_dp_ip_CI_unitstride_sbrr_C2R_dirReg
	.p2align	8
	.type	fft_rtc_fwd_len936_factors_2_2_13_2_3_3_wgs_234_tpt_78_halfLds_dp_ip_CI_unitstride_sbrr_C2R_dirReg,@function
fft_rtc_fwd_len936_factors_2_2_13_2_3_3_wgs_234_tpt_78_halfLds_dp_ip_CI_unitstride_sbrr_C2R_dirReg: ; @fft_rtc_fwd_len936_factors_2_2_13_2_3_3_wgs_234_tpt_78_halfLds_dp_ip_CI_unitstride_sbrr_C2R_dirReg
; %bb.0:
	s_load_b128 s[4:7], s[0:1], 0x0
	v_mul_u32_u24_e32 v1, 0x349, v0
	s_clause 0x1
	s_load_b64 s[8:9], s[0:1], 0x50
	s_load_b64 s[10:11], s[0:1], 0x18
	v_mov_b32_e32 v5, 0
	v_lshrrev_b32_e32 v1, 16, v1
	s_delay_alu instid0(VALU_DEP_1) | instskip(SKIP_3) | instid1(VALU_DEP_1)
	v_mad_co_u64_u32 v[1:2], null, ttmp9, 3, v[1:2]
	v_mov_b32_e32 v3, 0
	v_mov_b32_e32 v4, 0
	;; [unrolled: 1-line block ×4, first 2 shown]
	s_wait_kmcnt 0x0
	v_cmp_lt_u64_e64 s2, s[6:7], 2
	v_mov_b32_e32 v9, v1
	s_delay_alu instid0(VALU_DEP_2)
	s_and_b32 vcc_lo, exec_lo, s2
	s_cbranch_vccnz .LBB0_8
; %bb.1:
	s_load_b64 s[2:3], s[0:1], 0x10
	v_dual_mov_b32 v3, 0 :: v_dual_mov_b32 v8, v2
	v_dual_mov_b32 v4, 0 :: v_dual_mov_b32 v7, v1
	s_add_nc_u64 s[12:13], s[10:11], 8
	s_mov_b64 s[14:15], 1
	s_wait_kmcnt 0x0
	s_add_nc_u64 s[16:17], s[2:3], 8
	s_mov_b32 s3, 0
.LBB0_2:                                ; =>This Inner Loop Header: Depth=1
	s_load_b64 s[18:19], s[16:17], 0x0
                                        ; implicit-def: $vgpr9_vgpr10
	s_mov_b32 s2, exec_lo
	s_wait_kmcnt 0x0
	v_or_b32_e32 v6, s19, v8
	s_delay_alu instid0(VALU_DEP_1)
	v_cmpx_ne_u64_e32 0, v[5:6]
	s_wait_alu 0xfffe
	s_xor_b32 s20, exec_lo, s2
	s_cbranch_execz .LBB0_4
; %bb.3:                                ;   in Loop: Header=BB0_2 Depth=1
	s_cvt_f32_u32 s2, s18
	s_cvt_f32_u32 s21, s19
	s_sub_nc_u64 s[24:25], 0, s[18:19]
	s_wait_alu 0xfffe
	s_delay_alu instid0(SALU_CYCLE_1) | instskip(SKIP_1) | instid1(SALU_CYCLE_2)
	s_fmamk_f32 s2, s21, 0x4f800000, s2
	s_wait_alu 0xfffe
	v_s_rcp_f32 s2, s2
	s_delay_alu instid0(TRANS32_DEP_1) | instskip(SKIP_1) | instid1(SALU_CYCLE_2)
	s_mul_f32 s2, s2, 0x5f7ffffc
	s_wait_alu 0xfffe
	s_mul_f32 s21, s2, 0x2f800000
	s_wait_alu 0xfffe
	s_delay_alu instid0(SALU_CYCLE_2) | instskip(SKIP_1) | instid1(SALU_CYCLE_2)
	s_trunc_f32 s21, s21
	s_wait_alu 0xfffe
	s_fmamk_f32 s2, s21, 0xcf800000, s2
	s_cvt_u32_f32 s23, s21
	s_wait_alu 0xfffe
	s_delay_alu instid0(SALU_CYCLE_1) | instskip(SKIP_1) | instid1(SALU_CYCLE_2)
	s_cvt_u32_f32 s22, s2
	s_wait_alu 0xfffe
	s_mul_u64 s[26:27], s[24:25], s[22:23]
	s_wait_alu 0xfffe
	s_mul_hi_u32 s29, s22, s27
	s_mul_i32 s28, s22, s27
	s_mul_hi_u32 s2, s22, s26
	s_mul_i32 s30, s23, s26
	s_wait_alu 0xfffe
	s_add_nc_u64 s[28:29], s[2:3], s[28:29]
	s_mul_hi_u32 s21, s23, s26
	s_mul_hi_u32 s31, s23, s27
	s_add_co_u32 s2, s28, s30
	s_wait_alu 0xfffe
	s_add_co_ci_u32 s2, s29, s21
	s_mul_i32 s26, s23, s27
	s_add_co_ci_u32 s27, s31, 0
	s_wait_alu 0xfffe
	s_add_nc_u64 s[26:27], s[2:3], s[26:27]
	s_wait_alu 0xfffe
	v_add_co_u32 v2, s2, s22, s26
	s_delay_alu instid0(VALU_DEP_1) | instskip(SKIP_1) | instid1(VALU_DEP_1)
	s_cmp_lg_u32 s2, 0
	s_add_co_ci_u32 s23, s23, s27
	v_readfirstlane_b32 s22, v2
	s_wait_alu 0xfffe
	s_delay_alu instid0(VALU_DEP_1)
	s_mul_u64 s[24:25], s[24:25], s[22:23]
	s_wait_alu 0xfffe
	s_mul_hi_u32 s27, s22, s25
	s_mul_i32 s26, s22, s25
	s_mul_hi_u32 s2, s22, s24
	s_mul_i32 s28, s23, s24
	s_wait_alu 0xfffe
	s_add_nc_u64 s[26:27], s[2:3], s[26:27]
	s_mul_hi_u32 s21, s23, s24
	s_mul_hi_u32 s22, s23, s25
	s_wait_alu 0xfffe
	s_add_co_u32 s2, s26, s28
	s_add_co_ci_u32 s2, s27, s21
	s_mul_i32 s24, s23, s25
	s_add_co_ci_u32 s25, s22, 0
	s_wait_alu 0xfffe
	s_add_nc_u64 s[24:25], s[2:3], s[24:25]
	s_wait_alu 0xfffe
	v_add_co_u32 v2, s2, v2, s24
	s_delay_alu instid0(VALU_DEP_1) | instskip(SKIP_1) | instid1(VALU_DEP_1)
	s_cmp_lg_u32 s2, 0
	s_add_co_ci_u32 s2, s23, s25
	v_mul_hi_u32 v6, v7, v2
	s_wait_alu 0xfffe
	v_mad_co_u64_u32 v[9:10], null, v7, s2, 0
	v_mad_co_u64_u32 v[11:12], null, v8, v2, 0
	;; [unrolled: 1-line block ×3, first 2 shown]
	s_delay_alu instid0(VALU_DEP_3) | instskip(SKIP_1) | instid1(VALU_DEP_4)
	v_add_co_u32 v2, vcc_lo, v6, v9
	s_wait_alu 0xfffd
	v_add_co_ci_u32_e32 v6, vcc_lo, 0, v10, vcc_lo
	s_delay_alu instid0(VALU_DEP_2) | instskip(SKIP_1) | instid1(VALU_DEP_2)
	v_add_co_u32 v2, vcc_lo, v2, v11
	s_wait_alu 0xfffd
	v_add_co_ci_u32_e32 v2, vcc_lo, v6, v12, vcc_lo
	s_wait_alu 0xfffd
	v_add_co_ci_u32_e32 v6, vcc_lo, 0, v14, vcc_lo
	s_delay_alu instid0(VALU_DEP_2) | instskip(SKIP_1) | instid1(VALU_DEP_2)
	v_add_co_u32 v2, vcc_lo, v2, v13
	s_wait_alu 0xfffd
	v_add_co_ci_u32_e32 v6, vcc_lo, 0, v6, vcc_lo
	s_delay_alu instid0(VALU_DEP_2) | instskip(SKIP_1) | instid1(VALU_DEP_3)
	v_mul_lo_u32 v11, s19, v2
	v_mad_co_u64_u32 v[9:10], null, s18, v2, 0
	v_mul_lo_u32 v12, s18, v6
	s_delay_alu instid0(VALU_DEP_2) | instskip(NEXT) | instid1(VALU_DEP_2)
	v_sub_co_u32 v9, vcc_lo, v7, v9
	v_add3_u32 v10, v10, v12, v11
	s_delay_alu instid0(VALU_DEP_1) | instskip(SKIP_1) | instid1(VALU_DEP_1)
	v_sub_nc_u32_e32 v11, v8, v10
	s_wait_alu 0xfffd
	v_subrev_co_ci_u32_e64 v11, s2, s19, v11, vcc_lo
	v_add_co_u32 v12, s2, v2, 2
	s_wait_alu 0xf1ff
	v_add_co_ci_u32_e64 v13, s2, 0, v6, s2
	v_sub_co_u32 v14, s2, v9, s18
	v_sub_co_ci_u32_e32 v10, vcc_lo, v8, v10, vcc_lo
	s_wait_alu 0xf1ff
	v_subrev_co_ci_u32_e64 v11, s2, 0, v11, s2
	s_delay_alu instid0(VALU_DEP_3) | instskip(NEXT) | instid1(VALU_DEP_3)
	v_cmp_le_u32_e32 vcc_lo, s18, v14
	v_cmp_eq_u32_e64 s2, s19, v10
	s_wait_alu 0xfffd
	v_cndmask_b32_e64 v14, 0, -1, vcc_lo
	v_cmp_le_u32_e32 vcc_lo, s19, v11
	s_wait_alu 0xfffd
	v_cndmask_b32_e64 v15, 0, -1, vcc_lo
	v_cmp_le_u32_e32 vcc_lo, s18, v9
	;; [unrolled: 3-line block ×3, first 2 shown]
	s_wait_alu 0xfffd
	v_cndmask_b32_e64 v16, 0, -1, vcc_lo
	v_cmp_eq_u32_e32 vcc_lo, s19, v11
	s_wait_alu 0xf1ff
	s_delay_alu instid0(VALU_DEP_2)
	v_cndmask_b32_e64 v9, v16, v9, s2
	s_wait_alu 0xfffd
	v_cndmask_b32_e32 v11, v15, v14, vcc_lo
	v_add_co_u32 v14, vcc_lo, v2, 1
	s_wait_alu 0xfffd
	v_add_co_ci_u32_e32 v15, vcc_lo, 0, v6, vcc_lo
	s_delay_alu instid0(VALU_DEP_3) | instskip(SKIP_1) | instid1(VALU_DEP_2)
	v_cmp_ne_u32_e32 vcc_lo, 0, v11
	s_wait_alu 0xfffd
	v_dual_cndmask_b32 v10, v15, v13 :: v_dual_cndmask_b32 v11, v14, v12
	v_cmp_ne_u32_e32 vcc_lo, 0, v9
	s_wait_alu 0xfffd
	s_delay_alu instid0(VALU_DEP_2) | instskip(NEXT) | instid1(VALU_DEP_3)
	v_cndmask_b32_e32 v10, v6, v10, vcc_lo
	v_cndmask_b32_e32 v9, v2, v11, vcc_lo
.LBB0_4:                                ;   in Loop: Header=BB0_2 Depth=1
	s_wait_alu 0xfffe
	s_and_not1_saveexec_b32 s2, s20
	s_cbranch_execz .LBB0_6
; %bb.5:                                ;   in Loop: Header=BB0_2 Depth=1
	v_cvt_f32_u32_e32 v2, s18
	s_sub_co_i32 s20, 0, s18
	s_delay_alu instid0(VALU_DEP_1) | instskip(NEXT) | instid1(TRANS32_DEP_1)
	v_rcp_iflag_f32_e32 v2, v2
	v_mul_f32_e32 v2, 0x4f7ffffe, v2
	s_delay_alu instid0(VALU_DEP_1) | instskip(SKIP_1) | instid1(VALU_DEP_1)
	v_cvt_u32_f32_e32 v2, v2
	s_wait_alu 0xfffe
	v_mul_lo_u32 v6, s20, v2
	s_delay_alu instid0(VALU_DEP_1) | instskip(NEXT) | instid1(VALU_DEP_1)
	v_mul_hi_u32 v6, v2, v6
	v_add_nc_u32_e32 v2, v2, v6
	s_delay_alu instid0(VALU_DEP_1) | instskip(NEXT) | instid1(VALU_DEP_1)
	v_mul_hi_u32 v2, v7, v2
	v_mul_lo_u32 v6, v2, s18
	v_add_nc_u32_e32 v9, 1, v2
	s_delay_alu instid0(VALU_DEP_2) | instskip(NEXT) | instid1(VALU_DEP_1)
	v_sub_nc_u32_e32 v6, v7, v6
	v_subrev_nc_u32_e32 v10, s18, v6
	v_cmp_le_u32_e32 vcc_lo, s18, v6
	s_wait_alu 0xfffd
	s_delay_alu instid0(VALU_DEP_2) | instskip(SKIP_2) | instid1(VALU_DEP_3)
	v_cndmask_b32_e32 v6, v6, v10, vcc_lo
	v_mov_b32_e32 v10, v5
	v_cndmask_b32_e32 v2, v2, v9, vcc_lo
	v_cmp_le_u32_e32 vcc_lo, s18, v6
	s_delay_alu instid0(VALU_DEP_2) | instskip(SKIP_1) | instid1(VALU_DEP_1)
	v_add_nc_u32_e32 v9, 1, v2
	s_wait_alu 0xfffd
	v_cndmask_b32_e32 v9, v2, v9, vcc_lo
.LBB0_6:                                ;   in Loop: Header=BB0_2 Depth=1
	s_wait_alu 0xfffe
	s_or_b32 exec_lo, exec_lo, s2
	s_load_b64 s[20:21], s[12:13], 0x0
	v_mul_lo_u32 v2, v10, s18
	v_mul_lo_u32 v6, v9, s19
	v_mad_co_u64_u32 v[11:12], null, v9, s18, 0
	s_add_nc_u64 s[14:15], s[14:15], 1
	s_add_nc_u64 s[12:13], s[12:13], 8
	s_wait_alu 0xfffe
	v_cmp_ge_u64_e64 s2, s[14:15], s[6:7]
	s_add_nc_u64 s[16:17], s[16:17], 8
	s_delay_alu instid0(VALU_DEP_2) | instskip(NEXT) | instid1(VALU_DEP_3)
	v_add3_u32 v2, v12, v6, v2
	v_sub_co_u32 v6, vcc_lo, v7, v11
	s_wait_alu 0xfffd
	s_delay_alu instid0(VALU_DEP_2) | instskip(SKIP_3) | instid1(VALU_DEP_2)
	v_sub_co_ci_u32_e32 v2, vcc_lo, v8, v2, vcc_lo
	s_and_b32 vcc_lo, exec_lo, s2
	s_wait_kmcnt 0x0
	v_mul_lo_u32 v7, s21, v6
	v_mul_lo_u32 v2, s20, v2
	v_mad_co_u64_u32 v[3:4], null, s20, v6, v[3:4]
	s_delay_alu instid0(VALU_DEP_1)
	v_add3_u32 v4, v7, v4, v2
	s_wait_alu 0xfffe
	s_cbranch_vccnz .LBB0_8
; %bb.7:                                ;   in Loop: Header=BB0_2 Depth=1
	v_dual_mov_b32 v7, v9 :: v_dual_mov_b32 v8, v10
	s_branch .LBB0_2
.LBB0_8:
	s_lshl_b64 s[2:3], s[6:7], 3
	v_mul_hi_u32 v2, 0xaaaaaaab, v1
	s_wait_alu 0xfffe
	s_add_nc_u64 s[2:3], s[10:11], s[2:3]
	s_load_b64 s[0:1], s[0:1], 0x20
	s_load_b64 s[2:3], s[2:3], 0x0
	v_mul_hi_u32 v5, 0x3483484, v0
	s_delay_alu instid0(VALU_DEP_2) | instskip(NEXT) | instid1(VALU_DEP_2)
	v_lshrrev_b32_e32 v2, 1, v2
	v_mul_u32_u24_e32 v5, 0x4e, v5
	s_delay_alu instid0(VALU_DEP_2) | instskip(NEXT) | instid1(VALU_DEP_2)
	v_lshl_add_u32 v2, v2, 1, v2
	v_sub_nc_u32_e32 v100, v0, v5
	s_delay_alu instid0(VALU_DEP_2)
	v_sub_nc_u32_e32 v1, v1, v2
	s_wait_kmcnt 0x0
	v_cmp_gt_u64_e32 vcc_lo, s[0:1], v[9:10]
	v_mul_lo_u32 v6, s2, v10
	v_mul_lo_u32 v7, s3, v9
	v_mad_co_u64_u32 v[3:4], null, s2, v9, v[3:4]
	v_mul_u32_u24_e32 v2, 0x3a9, v1
	s_delay_alu instid0(VALU_DEP_1) | instskip(NEXT) | instid1(VALU_DEP_3)
	v_lshlrev_b32_e32 v113, 4, v2
	v_add3_u32 v4, v7, v4, v6
	s_delay_alu instid0(VALU_DEP_1)
	v_lshlrev_b64_e32 v[94:95], 4, v[3:4]
	s_and_saveexec_b32 s1, vcc_lo
	s_cbranch_execz .LBB0_12
; %bb.9:
	v_mov_b32_e32 v101, 0
	s_delay_alu instid0(VALU_DEP_2) | instskip(SKIP_2) | instid1(VALU_DEP_3)
	v_add_co_u32 v0, s0, s8, v94
	s_wait_alu 0xf1ff
	v_add_co_ci_u32_e64 v1, s0, s9, v95, s0
	v_lshlrev_b64_e32 v[3:4], 4, v[100:101]
	s_mov_b32 s2, exec_lo
	s_delay_alu instid0(VALU_DEP_1) | instskip(SKIP_1) | instid1(VALU_DEP_2)
	v_add_co_u32 v48, s0, v0, v3
	s_wait_alu 0xf1ff
	v_add_co_ci_u32_e64 v49, s0, v1, v4, s0
	v_lshlrev_b32_e32 v3, 4, v100
	s_clause 0xb
	global_load_b128 v[4:7], v[48:49], off
	global_load_b128 v[8:11], v[48:49], off offset:1248
	global_load_b128 v[12:15], v[48:49], off offset:2496
	;; [unrolled: 1-line block ×11, first 2 shown]
	v_add3_u32 v3, 0, v113, v3
	s_wait_loadcnt 0xb
	ds_store_b128 v3, v[4:7]
	s_wait_loadcnt 0xa
	ds_store_b128 v3, v[8:11] offset:1248
	s_wait_loadcnt 0x9
	ds_store_b128 v3, v[12:15] offset:2496
	;; [unrolled: 2-line block ×11, first 2 shown]
	v_cmpx_eq_u32_e32 0x4d, v100
	s_cbranch_execz .LBB0_11
; %bb.10:
	global_load_b128 v[4:7], v[0:1], off offset:14976
	v_mov_b32_e32 v100, 0x4d
	s_wait_loadcnt 0x0
	ds_store_b128 v3, v[4:7] offset:13744
.LBB0_11:
	s_wait_alu 0xfffe
	s_or_b32 exec_lo, exec_lo, s2
.LBB0_12:
	s_wait_alu 0xfffe
	s_or_b32 exec_lo, exec_lo, s1
	v_lshl_add_u32 v96, v2, 4, 0
	v_lshlrev_b32_e32 v10, 4, v100
	global_wb scope:SCOPE_SE
	s_wait_dscnt 0x0
	s_barrier_signal -1
	s_barrier_wait -1
	global_inv scope:SCOPE_SE
	v_add_nc_u32_e32 v112, v96, v10
	v_sub_nc_u32_e32 v11, v96, v10
	s_mov_b32 s1, exec_lo
                                        ; implicit-def: $vgpr4_vgpr5
	ds_load_b64 v[6:7], v112
	ds_load_b64 v[8:9], v11 offset:14976
	s_wait_dscnt 0x0
	v_add_f64_e32 v[0:1], v[6:7], v[8:9]
	v_add_f64_e64 v[2:3], v[6:7], -v[8:9]
	v_cmpx_ne_u32_e32 0, v100
	s_wait_alu 0xfffe
	s_xor_b32 s1, exec_lo, s1
	s_cbranch_execz .LBB0_14
; %bb.13:
	v_mov_b32_e32 v101, 0
	v_add_f64_e32 v[14:15], v[6:7], v[8:9]
	v_add_f64_e64 v[16:17], v[6:7], -v[8:9]
	s_delay_alu instid0(VALU_DEP_3) | instskip(NEXT) | instid1(VALU_DEP_1)
	v_lshlrev_b64_e32 v[0:1], 4, v[100:101]
	v_add_co_u32 v0, s0, s4, v0
	s_wait_alu 0xf1ff
	s_delay_alu instid0(VALU_DEP_2)
	v_add_co_ci_u32_e64 v1, s0, s5, v1, s0
	global_load_b128 v[2:5], v[0:1], off offset:14944
	ds_load_b64 v[0:1], v11 offset:14984
	ds_load_b64 v[12:13], v112 offset:8
	s_wait_dscnt 0x0
	v_add_f64_e32 v[6:7], v[0:1], v[12:13]
	v_add_f64_e64 v[0:1], v[12:13], -v[0:1]
	s_wait_loadcnt 0x0
	v_fma_f64 v[8:9], v[16:17], v[4:5], v[14:15]
	v_fma_f64 v[12:13], -v[16:17], v[4:5], v[14:15]
	s_delay_alu instid0(VALU_DEP_3) | instskip(SKIP_1) | instid1(VALU_DEP_4)
	v_fma_f64 v[14:15], v[6:7], v[4:5], -v[0:1]
	v_fma_f64 v[4:5], v[6:7], v[4:5], v[0:1]
	v_fma_f64 v[0:1], -v[6:7], v[2:3], v[8:9]
	s_delay_alu instid0(VALU_DEP_4) | instskip(NEXT) | instid1(VALU_DEP_4)
	v_fma_f64 v[6:7], v[6:7], v[2:3], v[12:13]
	v_fma_f64 v[8:9], v[16:17], v[2:3], v[14:15]
	s_delay_alu instid0(VALU_DEP_4)
	v_fma_f64 v[2:3], v[16:17], v[2:3], v[4:5]
	v_dual_mov_b32 v4, v100 :: v_dual_mov_b32 v5, v101
	ds_store_b128 v11, v[6:9] offset:14976
.LBB0_14:
	s_wait_alu 0xfffe
	s_and_not1_saveexec_b32 s0, s1
	s_cbranch_execz .LBB0_16
; %bb.15:
	ds_load_b128 v[4:7], v96 offset:7488
	s_wait_dscnt 0x0
	v_add_f64_e32 v[12:13], v[4:5], v[4:5]
	v_mul_f64_e32 v[14:15], -2.0, v[6:7]
	v_mov_b32_e32 v4, 0
	v_mov_b32_e32 v5, 0
	ds_store_b128 v96, v[12:15] offset:7488
.LBB0_16:
	s_wait_alu 0xfffe
	s_or_b32 exec_lo, exec_lo, s0
	v_lshlrev_b64_e32 v[4:5], 4, v[4:5]
	s_add_nc_u64 s[0:1], s[4:5], 0x3a60
	v_add_nc_u32_e32 v114, 0x4e, v100
	v_add_nc_u32_e32 v105, 0x9c, v100
	;; [unrolled: 1-line block ×4, first 2 shown]
	s_wait_alu 0xfffe
	v_add_co_u32 v24, s0, s0, v4
	s_wait_alu 0xf1ff
	v_add_co_ci_u32_e64 v25, s0, s1, v5, s0
	v_add_nc_u32_e32 v57, 0x186, v100
	v_and_b32_e32 v56, 1, v100
	v_lshlrev_b32_e32 v51, 5, v107
	s_clause 0x1
	global_load_b128 v[4:7], v[24:25], off offset:1248
	global_load_b128 v[12:15], v[24:25], off offset:2496
	ds_store_b128 v112, v[0:3]
	ds_load_b128 v[0:3], v112 offset:1248
	ds_load_b128 v[16:19], v11 offset:13728
	global_load_b128 v[20:23], v[24:25], off offset:3744
	v_lshlrev_b32_e32 v52, 5, v255
	v_lshlrev_b32_e32 v53, 5, v57
	;; [unrolled: 1-line block ×3, first 2 shown]
	v_add3_u32 v51, 0, v51, v113
	v_lshlrev_b32_e32 v109, 1, v100
	v_add3_u32 v52, 0, v52, v113
	v_add3_u32 v53, 0, v53, v113
	v_lshlrev_b32_e32 v104, 1, v114
	v_lshlrev_b32_e32 v108, 1, v105
	;; [unrolled: 1-line block ×3, first 2 shown]
	v_cmp_gt_u32_e64 s0, 0x48, v100
	s_wait_dscnt 0x0
	v_add_f64_e32 v[8:9], v[0:1], v[16:17]
	v_add_f64_e32 v[26:27], v[18:19], v[2:3]
	v_add_f64_e64 v[16:17], v[0:1], -v[16:17]
	v_add_f64_e64 v[0:1], v[2:3], -v[18:19]
	s_wait_loadcnt 0x2
	s_delay_alu instid0(VALU_DEP_2) | instskip(NEXT) | instid1(VALU_DEP_2)
	v_fma_f64 v[2:3], v[16:17], v[6:7], v[8:9]
	v_fma_f64 v[18:19], v[26:27], v[6:7], v[0:1]
	v_fma_f64 v[8:9], -v[16:17], v[6:7], v[8:9]
	v_fma_f64 v[28:29], v[26:27], v[6:7], -v[0:1]
	s_delay_alu instid0(VALU_DEP_4) | instskip(NEXT) | instid1(VALU_DEP_4)
	v_fma_f64 v[0:1], -v[26:27], v[4:5], v[2:3]
	v_fma_f64 v[2:3], v[16:17], v[4:5], v[18:19]
	s_delay_alu instid0(VALU_DEP_4) | instskip(NEXT) | instid1(VALU_DEP_4)
	v_fma_f64 v[6:7], v[26:27], v[4:5], v[8:9]
	v_fma_f64 v[8:9], v[16:17], v[4:5], v[28:29]
	ds_store_b128 v112, v[0:3] offset:1248
	ds_store_b128 v11, v[6:9] offset:13728
	ds_load_b128 v[0:3], v112 offset:2496
	ds_load_b128 v[4:7], v11 offset:12480
	global_load_b128 v[16:19], v[24:25], off offset:4992
	s_wait_dscnt 0x0
	v_add_f64_e32 v[8:9], v[0:1], v[4:5]
	v_add_f64_e32 v[26:27], v[6:7], v[2:3]
	v_add_f64_e64 v[28:29], v[0:1], -v[4:5]
	v_add_f64_e64 v[0:1], v[2:3], -v[6:7]
	s_wait_loadcnt 0x2
	s_delay_alu instid0(VALU_DEP_2) | instskip(NEXT) | instid1(VALU_DEP_2)
	v_fma_f64 v[2:3], v[28:29], v[14:15], v[8:9]
	v_fma_f64 v[4:5], v[26:27], v[14:15], v[0:1]
	v_fma_f64 v[6:7], -v[28:29], v[14:15], v[8:9]
	v_fma_f64 v[8:9], v[26:27], v[14:15], -v[0:1]
	s_delay_alu instid0(VALU_DEP_4) | instskip(NEXT) | instid1(VALU_DEP_4)
	v_fma_f64 v[0:1], -v[26:27], v[12:13], v[2:3]
	v_fma_f64 v[2:3], v[28:29], v[12:13], v[4:5]
	s_delay_alu instid0(VALU_DEP_4) | instskip(NEXT) | instid1(VALU_DEP_4)
	v_fma_f64 v[4:5], v[26:27], v[12:13], v[6:7]
	v_fma_f64 v[6:7], v[28:29], v[12:13], v[8:9]
	ds_store_b128 v112, v[0:3] offset:2496
	ds_store_b128 v11, v[4:7] offset:12480
	ds_load_b128 v[0:3], v112 offset:3744
	ds_load_b128 v[4:7], v11 offset:11232
	global_load_b128 v[12:15], v[24:25], off offset:6240
	s_wait_dscnt 0x0
	v_add_f64_e32 v[8:9], v[0:1], v[4:5]
	v_add_f64_e32 v[24:25], v[6:7], v[2:3]
	v_add_f64_e64 v[26:27], v[0:1], -v[4:5]
	v_add_f64_e64 v[0:1], v[2:3], -v[6:7]
	s_wait_loadcnt 0x2
	s_delay_alu instid0(VALU_DEP_2) | instskip(NEXT) | instid1(VALU_DEP_2)
	v_fma_f64 v[2:3], v[26:27], v[22:23], v[8:9]
	v_fma_f64 v[4:5], v[24:25], v[22:23], v[0:1]
	v_fma_f64 v[6:7], -v[26:27], v[22:23], v[8:9]
	v_fma_f64 v[8:9], v[24:25], v[22:23], -v[0:1]
	s_delay_alu instid0(VALU_DEP_4) | instskip(NEXT) | instid1(VALU_DEP_4)
	v_fma_f64 v[0:1], -v[24:25], v[20:21], v[2:3]
	v_fma_f64 v[2:3], v[26:27], v[20:21], v[4:5]
	s_delay_alu instid0(VALU_DEP_4) | instskip(NEXT) | instid1(VALU_DEP_4)
	v_fma_f64 v[4:5], v[24:25], v[20:21], v[6:7]
	v_fma_f64 v[6:7], v[26:27], v[20:21], v[8:9]
	ds_store_b128 v112, v[0:3] offset:3744
	ds_store_b128 v11, v[4:7] offset:11232
	ds_load_b128 v[0:3], v112 offset:4992
	ds_load_b128 v[4:7], v11 offset:9984
	s_wait_dscnt 0x0
	v_add_f64_e32 v[8:9], v[0:1], v[4:5]
	v_add_f64_e32 v[20:21], v[6:7], v[2:3]
	v_add_f64_e64 v[22:23], v[0:1], -v[4:5]
	v_add_f64_e64 v[0:1], v[2:3], -v[6:7]
	s_wait_loadcnt 0x1
	s_delay_alu instid0(VALU_DEP_2) | instskip(NEXT) | instid1(VALU_DEP_2)
	v_fma_f64 v[2:3], v[22:23], v[18:19], v[8:9]
	v_fma_f64 v[4:5], v[20:21], v[18:19], v[0:1]
	v_fma_f64 v[6:7], -v[22:23], v[18:19], v[8:9]
	v_fma_f64 v[8:9], v[20:21], v[18:19], -v[0:1]
	s_delay_alu instid0(VALU_DEP_4) | instskip(NEXT) | instid1(VALU_DEP_4)
	v_fma_f64 v[0:1], -v[20:21], v[16:17], v[2:3]
	v_fma_f64 v[2:3], v[22:23], v[16:17], v[4:5]
	s_delay_alu instid0(VALU_DEP_4) | instskip(NEXT) | instid1(VALU_DEP_4)
	v_fma_f64 v[4:5], v[20:21], v[16:17], v[6:7]
	v_fma_f64 v[6:7], v[22:23], v[16:17], v[8:9]
	ds_store_b128 v112, v[0:3] offset:4992
	ds_store_b128 v11, v[4:7] offset:9984
	ds_load_b128 v[0:3], v112 offset:6240
	ds_load_b128 v[4:7], v11 offset:8736
	s_wait_dscnt 0x0
	v_add_f64_e32 v[8:9], v[0:1], v[4:5]
	v_add_f64_e32 v[16:17], v[6:7], v[2:3]
	v_add_f64_e64 v[18:19], v[0:1], -v[4:5]
	v_add_f64_e64 v[0:1], v[2:3], -v[6:7]
	s_wait_loadcnt 0x0
	s_delay_alu instid0(VALU_DEP_2) | instskip(NEXT) | instid1(VALU_DEP_2)
	v_fma_f64 v[2:3], v[18:19], v[14:15], v[8:9]
	v_fma_f64 v[4:5], v[16:17], v[14:15], v[0:1]
	v_fma_f64 v[6:7], -v[18:19], v[14:15], v[8:9]
	v_fma_f64 v[8:9], v[16:17], v[14:15], -v[0:1]
	s_delay_alu instid0(VALU_DEP_4) | instskip(NEXT) | instid1(VALU_DEP_4)
	v_fma_f64 v[0:1], -v[16:17], v[12:13], v[2:3]
	v_fma_f64 v[2:3], v[18:19], v[12:13], v[4:5]
	s_delay_alu instid0(VALU_DEP_4) | instskip(NEXT) | instid1(VALU_DEP_4)
	v_fma_f64 v[4:5], v[16:17], v[12:13], v[6:7]
	v_fma_f64 v[6:7], v[18:19], v[12:13], v[8:9]
	v_add_nc_u32_e32 v8, 0, v10
	v_lshlrev_b32_e32 v9, 5, v105
	ds_store_b128 v112, v[0:3] offset:6240
	ds_store_b128 v11, v[4:7] offset:8736
	v_add_nc_u32_e32 v101, v8, v113
	global_wb scope:SCOPE_SE
	s_wait_dscnt 0x0
	s_barrier_signal -1
	s_barrier_wait -1
	global_inv scope:SCOPE_SE
	global_wb scope:SCOPE_SE
	s_barrier_signal -1
	s_barrier_wait -1
	global_inv scope:SCOPE_SE
	ds_load_b128 v[0:3], v101 offset:7488
	ds_load_b128 v[4:7], v112
	ds_load_b128 v[11:14], v101 offset:1248
	ds_load_b128 v[15:18], v101 offset:8736
	;; [unrolled: 1-line block ×10, first 2 shown]
	v_lshlrev_b32_e32 v8, 5, v114
	v_add_nc_u32_e32 v10, v101, v10
	v_add3_u32 v9, 0, v9, v113
	global_wb scope:SCOPE_SE
	s_wait_dscnt 0x0
	s_barrier_signal -1
	v_add3_u32 v8, 0, v8, v113
	s_barrier_wait -1
	global_inv scope:SCOPE_SE
	v_add_f64_e64 v[0:1], v[4:5], -v[0:1]
	v_add_f64_e64 v[2:3], v[6:7], -v[2:3]
	;; [unrolled: 1-line block ×12, first 2 shown]
	v_fma_f64 v[4:5], v[4:5], 2.0, -v[0:1]
	v_fma_f64 v[6:7], v[6:7], 2.0, -v[2:3]
	;; [unrolled: 1-line block ×12, first 2 shown]
	ds_store_b128 v10, v[4:7]
	ds_store_b128 v10, v[0:3] offset:16
	ds_store_b128 v8, v[11:14]
	ds_store_b128 v8, v[15:18] offset:16
	;; [unrolled: 2-line block ×6, first 2 shown]
	global_wb scope:SCOPE_SE
	s_wait_dscnt 0x0
	s_barrier_signal -1
	s_barrier_wait -1
	global_inv scope:SCOPE_SE
	global_load_b128 v[0:3], v54, s[4:5]
	ds_load_b128 v[4:7], v101 offset:7488
	ds_load_b128 v[8:11], v101 offset:8736
	;; [unrolled: 1-line block ×6, first 2 shown]
	s_wait_loadcnt_dscnt 0x5
	v_mul_f64_e32 v[28:29], v[6:7], v[2:3]
	v_mul_f64_e32 v[30:31], v[4:5], v[2:3]
	s_wait_dscnt 0x4
	v_mul_f64_e32 v[32:33], v[10:11], v[2:3]
	v_mul_f64_e32 v[34:35], v[8:9], v[2:3]
	s_wait_dscnt 0x3
	;; [unrolled: 3-line block ×5, first 2 shown]
	v_mul_f64_e32 v[48:49], v[26:27], v[2:3]
	v_mul_f64_e32 v[2:3], v[24:25], v[2:3]
	v_fma_f64 v[4:5], v[4:5], v[0:1], -v[28:29]
	v_fma_f64 v[6:7], v[6:7], v[0:1], v[30:31]
	v_fma_f64 v[8:9], v[8:9], v[0:1], -v[32:33]
	v_fma_f64 v[10:11], v[10:11], v[0:1], v[34:35]
	;; [unrolled: 2-line block ×6, first 2 shown]
	ds_load_b128 v[0:3], v112
	ds_load_b128 v[20:23], v101 offset:1248
	ds_load_b128 v[24:27], v101 offset:2496
	;; [unrolled: 1-line block ×5, first 2 shown]
	global_wb scope:SCOPE_SE
	s_wait_dscnt 0x0
	s_barrier_signal -1
	s_barrier_wait -1
	global_inv scope:SCOPE_SE
	v_add_f64_e64 v[12:13], v[0:1], -v[4:5]
	v_add_f64_e64 v[14:15], v[2:3], -v[6:7]
	;; [unrolled: 1-line block ×12, first 2 shown]
	v_fma_f64 v[0:1], v[0:1], 2.0, -v[12:13]
	v_fma_f64 v[2:3], v[2:3], 2.0, -v[14:15]
	;; [unrolled: 1-line block ×12, first 2 shown]
	v_lshlrev_b32_e32 v49, 1, v255
	v_lshlrev_b32_e32 v50, 1, v57
	v_and_or_b32 v48, 0xfc, v109, v56
	v_and_or_b32 v51, 0x1fc, v104, v56
	;; [unrolled: 1-line block ×5, first 2 shown]
	v_lshlrev_b32_e32 v48, 4, v48
	v_and_or_b32 v53, 0x3fc, v106, v56
	v_lshlrev_b32_e32 v51, 4, v51
	v_lshlrev_b32_e32 v49, 4, v49
	v_lshlrev_b32_e32 v52, 4, v52
	v_lshlrev_b32_e32 v50, 4, v50
	v_add3_u32 v48, 0, v48, v113
	v_lshlrev_b32_e32 v53, 4, v53
	v_add3_u32 v49, 0, v49, v113
	v_add3_u32 v51, 0, v51, v113
	;; [unrolled: 1-line block ×5, first 2 shown]
	ds_store_b128 v48, v[0:3]
	ds_store_b128 v48, v[12:15] offset:32
	ds_store_b128 v51, v[36:39]
	ds_store_b128 v51, v[16:19] offset:32
	;; [unrolled: 2-line block ×6, first 2 shown]
	global_wb scope:SCOPE_SE
	s_wait_dscnt 0x0
	s_barrier_signal -1
	s_barrier_wait -1
	global_inv scope:SCOPE_SE
                                        ; implicit-def: $vgpr50_vgpr51
	s_and_saveexec_b32 s1, s0
	s_cbranch_execz .LBB0_18
; %bb.17:
	ds_load_b128 v[0:3], v112
	ds_load_b128 v[12:15], v101 offset:1152
	ds_load_b128 v[36:39], v101 offset:2304
	;; [unrolled: 1-line block ×12, first 2 shown]
.LBB0_18:
	s_wait_alu 0xfffe
	s_or_b32 exec_lo, exec_lo, s1
	global_wb scope:SCOPE_SE
	s_wait_dscnt 0x0
	s_barrier_signal -1
	s_barrier_wait -1
	global_inv scope:SCOPE_SE
	s_and_saveexec_b32 s33, s0
	s_cbranch_execz .LBB0_20
; %bb.19:
	v_and_b32_e32 v52, 3, v100
	s_mov_b32 s0, 0xebaa3ed8
	s_mov_b32 s2, 0x66966769
	;; [unrolled: 1-line block ×4, first 2 shown]
	v_mul_u32_u24_e32 v52, 12, v52
	s_mov_b32 s16, 0x1ea71119
	s_mov_b32 s14, 0xd0032e0c
	;; [unrolled: 1-line block ×4, first 2 shown]
	v_lshlrev_b32_e32 v56, 4, v52
	s_mov_b32 s26, 0x4bc48dbf
	s_mov_b32 s1, 0x3fbedb7d
	;; [unrolled: 1-line block ×4, first 2 shown]
	s_clause 0x4
	global_load_b128 v[72:75], v56, s[4:5] offset:32
	global_load_b128 v[68:71], v56, s[4:5] offset:208
	;; [unrolled: 1-line block ×5, first 2 shown]
	scratch_store_b64 off, v[94:95], off    ; 8-byte Folded Spill
	s_clause 0x1
	global_load_b128 v[92:95], v56, s[4:5] offset:176
	global_load_b128 v[76:79], v56, s[4:5] offset:80
	scratch_store_b32 off, v96, off offset:8 ; 4-byte Folded Spill
	s_clause 0x4
	global_load_b128 v[96:99], v56, s[4:5] offset:160
	global_load_b128 v[60:63], v56, s[4:5] offset:112
	;; [unrolled: 1-line block ×5, first 2 shown]
	s_mov_b32 s11, 0x3fedeba7
	s_mov_b32 s17, 0x3fe22d96
	;; [unrolled: 1-line block ×9, first 2 shown]
	s_wait_alu 0xfffe
	s_mov_b32 s30, s26
	s_mov_b32 s24, 0x42a4c3d2
	;; [unrolled: 1-line block ×12, first 2 shown]
	s_wait_alu 0xfffe
	s_mov_b32 s38, s24
	s_mov_b32 s34, s22
	;; [unrolled: 1-line block ×3, first 2 shown]
	s_wait_loadcnt 0xb
	v_mul_f64_e32 v[117:118], v[12:13], v[74:75]
	v_mul_f64_e32 v[74:75], v[14:15], v[74:75]
	s_wait_loadcnt 0xa
	v_mul_f64_e32 v[119:120], v[48:49], v[70:71]
	s_wait_loadcnt 0x9
	;; [unrolled: 2-line block ×5, first 2 shown]
	v_mul_f64_e32 v[127:128], v[44:45], v[94:95]
	v_mul_f64_e32 v[70:71], v[50:51], v[70:71]
	;; [unrolled: 1-line block ×4, first 2 shown]
	s_wait_loadcnt 0x0
	v_mul_f64_e32 v[139:140], v[8:9], v[58:59]
	v_mul_f64_e32 v[58:59], v[10:11], v[58:59]
	;; [unrolled: 1-line block ×14, first 2 shown]
	v_fma_f64 v[117:118], v[14:15], v[72:73], v[117:118]
	v_fma_f64 v[72:73], v[12:13], v[72:73], -v[74:75]
	v_fma_f64 v[102:103], v[50:51], v[68:69], v[119:120]
	v_fma_f64 v[54:55], v[38:39], v[84:85], v[121:122]
	;; [unrolled: 1-line block ×5, first 2 shown]
	v_fma_f64 v[48:49], v[48:49], v[68:69], -v[70:71]
	v_fma_f64 v[46:47], v[36:37], v[84:85], -v[86:87]
	;; [unrolled: 1-line block ×3, first 2 shown]
	v_fma_f64 v[10:11], v[10:11], v[56:57], v[139:140]
	v_fma_f64 v[8:9], v[8:9], v[56:57], -v[58:59]
	v_fma_f64 v[42:43], v[42:43], v[76:77], v[129:130]
	v_fma_f64 v[36:37], v[16:17], v[80:81], -v[82:83]
	v_fma_f64 v[16:17], v[44:45], v[92:93], -v[94:95]
	;; [unrolled: 1-line block ×3, first 2 shown]
	v_fma_f64 v[22:23], v[22:23], v[60:61], v[133:134]
	v_fma_f64 v[40:41], v[6:7], v[64:65], v[135:136]
	v_fma_f64 v[14:15], v[26:27], v[52:53], v[137:138]
	v_fma_f64 v[20:21], v[20:21], v[60:61], -v[62:63]
	v_fma_f64 v[26:27], v[4:5], v[64:65], -v[66:67]
	;; [unrolled: 1-line block ×3, first 2 shown]
	v_fma_f64 v[30:31], v[30:31], v[96:97], v[131:132]
	v_fma_f64 v[28:29], v[28:29], v[96:97], -v[98:99]
	v_add_f64_e32 v[56:57], v[2:3], v[117:118]
	v_add_f64_e32 v[58:59], v[0:1], v[72:73]
	scratch_store_b64 off, v[102:103], off offset:12 ; 8-byte Folded Spill
	v_add_f64_e32 v[52:53], v[117:118], v[102:103]
	v_add_f64_e32 v[62:63], v[54:55], v[34:35]
	v_add_f64_e64 v[64:65], v[54:55], -v[34:35]
	v_add_f64_e64 v[60:61], v[117:118], -v[102:103]
	scratch_store_b64 off, v[48:49], off offset:20 ; 8-byte Folded Spill
	v_add_f64_e64 v[74:75], v[72:73], -v[48:49]
	v_add_f64_e32 v[72:73], v[72:73], v[48:49]
	v_add_f64_e64 v[48:49], v[46:47], -v[18:19]
	v_add_f64_e32 v[44:45], v[46:47], v[18:19]
	v_add_f64_e32 v[66:67], v[50:51], v[38:39]
	v_add_f64_e64 v[68:69], v[50:51], -v[38:39]
	v_add_f64_e64 v[76:77], v[36:37], -v[16:17]
	v_add_f64_e32 v[24:25], v[36:37], v[16:17]
	v_add_f64_e32 v[88:89], v[22:23], v[10:11]
	v_add_f64_e64 v[90:91], v[22:23], -v[10:11]
	v_add_f64_e32 v[84:85], v[40:41], v[14:15]
	v_add_f64_e64 v[86:87], v[40:41], -v[14:15]
	v_add_f64_e64 v[96:97], v[20:21], -v[8:9]
	;; [unrolled: 1-line block ×3, first 2 shown]
	v_add_f64_e32 v[70:71], v[42:43], v[30:31]
	v_add_f64_e64 v[78:79], v[32:33], -v[28:29]
	v_add_f64_e64 v[80:81], v[42:43], -v[30:31]
	v_add_f64_e32 v[82:83], v[32:33], v[28:29]
	v_add_f64_e32 v[94:95], v[26:27], v[12:13]
	;; [unrolled: 1-line block ×5, first 2 shown]
	v_mul_f64_e32 v[117:118], s[12:13], v[52:53]
	v_mul_f64_e32 v[119:120], s[14:15], v[52:53]
	;; [unrolled: 1-line block ×35, first 2 shown]
	v_add_f64_e32 v[50:51], v[54:55], v[50:51]
	v_add_f64_e32 v[36:37], v[46:47], v[36:37]
	v_mul_f64_e32 v[175:176], s[40:41], v[64:65]
	v_fma_f64 v[199:200], v[74:75], s[26:27], v[117:118]
	v_fma_f64 v[117:118], v[74:75], s[30:31], v[117:118]
	;; [unrolled: 1-line block ×13, first 2 shown]
	v_fma_f64 v[58:59], v[72:73], s[12:13], -v[58:59]
	v_fma_f64 v[213:214], v[72:73], s[6:7], v[127:128]
	v_fma_f64 v[215:216], v[72:73], s[0:1], v[129:130]
	v_fma_f64 v[129:130], v[72:73], s[0:1], -v[129:130]
	v_mul_f64_e32 v[64:65], s[24:25], v[64:65]
	v_mul_f64_e32 v[54:55], s[28:29], v[68:69]
	;; [unrolled: 1-line block ×3, first 2 shown]
	v_fma_f64 v[211:212], v[72:73], s[14:15], v[125:126]
	v_fma_f64 v[125:126], v[72:73], s[14:15], -v[125:126]
	v_fma_f64 v[127:128], v[72:73], s[6:7], -v[127:128]
	v_fma_f64 v[217:218], v[72:73], s[16:17], v[131:132]
	v_fma_f64 v[219:220], v[76:77], s[22:23], v[137:138]
	;; [unrolled: 1-line block ×12, first 2 shown]
	v_add_f64_e32 v[42:43], v[50:51], v[42:43]
	v_add_f64_e32 v[32:33], v[36:37], v[32:33]
	v_fma_f64 v[50:51], v[72:73], s[16:17], -v[131:132]
	v_fma_f64 v[131:132], v[72:73], s[18:19], v[60:61]
	v_fma_f64 v[60:61], v[72:73], s[18:19], -v[60:61]
	v_fma_f64 v[72:73], v[48:49], s[20:21], v[133:134]
	v_fma_f64 v[36:37], v[44:45], s[18:19], v[135:136]
	;; [unrolled: 1-line block ×3, first 2 shown]
	v_fma_f64 v[135:136], v[44:45], s[18:19], -v[135:136]
	v_fma_f64 v[153:154], v[78:79], s[2:3], v[153:154]
	v_fma_f64 v[233:234], v[78:79], s[20:21], v[155:156]
	;; [unrolled: 1-line block ×18, first 2 shown]
	v_fma_f64 v[173:174], v[44:45], s[12:13], -v[173:174]
	v_add_f64_e32 v[58:59], v[0:1], v[58:59]
	v_add_f64_e32 v[213:214], v[0:1], v[213:214]
	;; [unrolled: 1-line block ×5, first 2 shown]
	v_mul_f64_e32 v[149:150], s[24:25], v[68:69]
	v_mul_f64_e32 v[179:180], s[30:31], v[68:69]
	;; [unrolled: 1-line block ×5, first 2 shown]
	v_add_f64_e32 v[40:41], v[42:43], v[40:41]
	v_add_f64_e32 v[26:27], v[32:33], v[26:27]
	v_fma_f64 v[42:43], v[48:49], s[22:23], v[165:166]
	v_fma_f64 v[165:166], v[48:49], s[26:27], v[167:168]
	;; [unrolled: 1-line block ×7, first 2 shown]
	v_mul_f64_e32 v[185:186], s[28:29], v[80:81]
	v_fma_f64 v[225:226], v[44:45], s[0:1], v[145:146]
	v_fma_f64 v[145:146], v[44:45], s[0:1], -v[145:146]
	v_fma_f64 v[171:172], v[44:45], s[14:15], -v[171:172]
	v_fma_f64 v[249:250], v[44:45], s[6:7], v[175:176]
	v_fma_f64 v[175:176], v[44:45], s[6:7], -v[175:176]
	v_fma_f64 v[251:252], v[44:45], s[16:17], v[64:65]
	;; [unrolled: 2-line block ×4, first 2 shown]
	v_fma_f64 v[110:111], v[24:25], s[6:7], v[177:178]
	v_fma_f64 v[177:178], v[24:25], s[6:7], -v[177:178]
	v_add_f64_e32 v[199:200], v[2:3], v[199:200]
	v_add_f64_e32 v[74:75], v[0:1], v[74:75]
	;; [unrolled: 1-line block ×26, first 2 shown]
	v_mul_f64_e32 v[181:182], s[26:27], v[80:81]
	v_mul_f64_e32 v[187:188], s[22:23], v[80:81]
	;; [unrolled: 1-line block ×6, first 2 shown]
	v_fma_f64 v[253:254], v[24:25], s[16:17], v[149:150]
	v_fma_f64 v[149:150], v[24:25], s[16:17], -v[149:150]
	v_fma_f64 v[54:55], v[24:25], s[18:19], -v[54:55]
	v_fma_f64 v[115:116], v[24:25], s[12:13], v[179:180]
	v_fma_f64 v[179:180], v[24:25], s[12:13], -v[179:180]
	v_fma_f64 v[4:5], v[24:25], s[0:1], v[68:69]
	;; [unrolled: 2-line block ×4, first 2 shown]
	v_fma_f64 v[26:27], v[82:83], s[18:19], v[185:186]
	v_add_f64_e32 v[211:212], v[225:226], v[211:212]
	v_mul_f64_e32 v[225:226], s[12:13], v[84:85]
	v_add_f64_e32 v[119:120], v[143:144], v[119:120]
	v_mul_f64_e32 v[143:144], s[16:17], v[84:85]
	;; [unrolled: 2-line block ×3, first 2 shown]
	v_mul_f64_e32 v[195:196], s[36:37], v[90:91]
	v_fma_f64 v[183:184], v[82:83], s[0:1], -v[183:184]
	v_fma_f64 v[185:186], v[82:83], s[18:19], -v[185:186]
	v_add_f64_e32 v[72:73], v[72:73], v[199:200]
	v_mul_f64_e32 v[199:200], s[6:7], v[88:89]
	v_add_f64_e32 v[10:11], v[22:23], v[10:11]
	v_add_f64_e32 v[8:9], v[20:21], v[8:9]
	v_mul_f64_e32 v[22:23], s[0:1], v[84:85]
	v_mul_f64_e32 v[84:85], s[14:15], v[84:85]
	;; [unrolled: 1-line block ×3, first 2 shown]
	v_add_f64_e32 v[2:3], v[48:49], v[2:3]
	v_add_f64_e32 v[0:1], v[44:45], v[0:1]
	v_add_f64_e32 v[58:59], v[139:140], v[58:59]
	v_add_f64_e32 v[62:63], v[102:103], v[62:63]
	v_add_f64_e32 v[102:103], v[177:178], v[129:130]
	v_add_f64_e32 v[110:111], v[110:111], v[215:216]
	v_add_f64_e32 v[129:130], v[243:244], v[169:170]
	v_fma_f64 v[6:7], v[82:83], s[12:13], v[181:182]
	v_fma_f64 v[181:182], v[82:83], s[12:13], -v[181:182]
	v_fma_f64 v[52:53], v[82:83], s[14:15], v[187:188]
	v_fma_f64 v[60:61], v[82:83], s[14:15], -v[187:188]
	;; [unrolled: 2-line block ×3, first 2 shown]
	v_mul_f64_e32 v[82:83], s[28:29], v[86:87]
	v_add_f64_e32 v[36:37], v[36:37], v[74:75]
	v_add_f64_e32 v[117:118], v[133:134], v[117:118]
	v_mul_f64_e32 v[133:134], s[16:17], v[88:89]
	v_mul_f64_e32 v[135:136], s[14:15], v[88:89]
	v_add_f64_e32 v[201:202], v[223:224], v[201:202]
	v_mul_f64_e32 v[223:224], s[18:19], v[88:89]
	v_mul_f64_e32 v[88:89], s[12:13], v[88:89]
	v_add_f64_e32 v[125:126], v[145:146], v[125:126]
	v_mul_f64_e32 v[145:146], s[24:25], v[86:87]
	v_add_f64_e32 v[76:77], v[76:77], v[203:204]
	v_mul_f64_e32 v[203:204], s[36:37], v[86:87]
	v_mul_f64_e32 v[86:87], s[34:35], v[86:87]
	;; [unrolled: 1-line block ×3, first 2 shown]
	v_add_f64_e32 v[165:166], v[165:166], v[205:206]
	v_fma_f64 v[247:248], v[94:95], s[6:7], v[191:192]
	v_add_f64_e32 v[121:122], v[167:168], v[121:122]
	v_fma_f64 v[191:192], v[94:95], s[6:7], -v[191:192]
	v_add_f64_e32 v[50:51], v[175:176], v[50:51]
	v_add_f64_e32 v[207:208], v[245:246], v[207:208]
	v_add_f64_e32 v[10:11], v[10:11], v[14:15]
	v_add_f64_e32 v[8:9], v[8:9], v[12:13]
	v_add_f64_e32 v[12:13], v[251:252], v[131:132]
	v_add_f64_e32 v[217:218], v[249:250], v[217:218]
	v_add_f64_e32 v[54:55], v[54:55], v[127:128]
	v_add_f64_e32 v[2:3], v[66:67], v[2:3]
	v_add_f64_e32 v[0:1], v[24:25], v[0:1]
	v_add_f64_e32 v[46:47], v[46:47], v[58:59]
	v_add_f64_e32 v[40:41], v[40:41], v[62:63]
	v_mul_f64_e32 v[74:75], s[40:41], v[90:91]
	v_add_f64_e32 v[26:27], v[26:27], v[110:111]
	v_add_f64_e32 v[110:111], v[237:238], v[129:130]
	v_add_f64_e32 v[42:43], v[42:43], v[56:57]
	v_mul_f64_e32 v[56:57], s[34:35], v[90:91]
	v_mul_f64_e32 v[171:172], s[28:29], v[90:91]
	;; [unrolled: 1-line block ×3, first 2 shown]
	v_fma_f64 v[205:206], v[92:93], s[10:11], v[189:190]
	v_fma_f64 v[167:168], v[96:97], s[2:3], v[193:194]
	v_add_f64_e32 v[32:33], v[32:33], v[123:124]
	v_fma_f64 v[123:124], v[98:99], s[0:1], v[195:196]
	v_fma_f64 v[189:190], v[92:93], s[40:41], v[189:190]
	;; [unrolled: 1-line block ×3, first 2 shown]
	v_fma_f64 v[195:196], v[98:99], s[0:1], -v[195:196]
	v_fma_f64 v[175:176], v[92:93], s[20:21], v[197:198]
	v_fma_f64 v[173:174], v[94:95], s[18:19], v[82:83]
	;; [unrolled: 1-line block ×4, first 2 shown]
	v_fma_f64 v[44:45], v[94:95], s[18:19], -v[82:83]
	v_fma_f64 v[48:49], v[96:97], s[40:41], v[199:200]
	v_fma_f64 v[82:83], v[96:97], s[24:25], v[133:134]
	;; [unrolled: 1-line block ×9, first 2 shown]
	v_add_f64_e32 v[36:37], v[64:65], v[36:37]
	v_add_f64_e32 v[10:11], v[10:11], v[30:31]
	;; [unrolled: 1-line block ×4, first 2 shown]
	v_fma_f64 v[12:13], v[92:93], s[22:23], v[84:85]
	v_fma_f64 v[28:29], v[94:95], s[12:13], v[20:21]
	v_add_f64_e32 v[64:65], v[137:138], v[117:118]
	v_add_f64_e32 v[117:118], v[227:228], v[201:202]
	;; [unrolled: 1-line block ×10, first 2 shown]
	v_fma_f64 v[24:25], v[92:93], s[34:35], v[84:85]
	v_fma_f64 v[20:21], v[94:95], s[12:13], -v[20:21]
	v_fma_f64 v[30:31], v[94:95], s[16:17], v[145:146]
	v_fma_f64 v[66:67], v[94:95], s[16:17], -v[145:146]
	;; [unrolled: 2-line block ×4, first 2 shown]
	v_fma_f64 v[94:95], v[96:97], s[22:23], v[135:136]
	v_fma_f64 v[135:136], v[96:97], s[34:35], v[135:136]
	v_add_f64_e32 v[54:55], v[183:184], v[54:55]
	v_add_f64_e32 v[2:3], v[70:71], v[2:3]
	;; [unrolled: 1-line block ×3, first 2 shown]
	v_fma_f64 v[70:71], v[96:97], s[20:21], v[223:224]
	v_fma_f64 v[80:81], v[96:97], s[26:27], v[88:89]
	;; [unrolled: 1-line block ×3, first 2 shown]
	v_add_f64_e32 v[46:47], v[191:192], v[46:47]
	v_fma_f64 v[249:250], v[98:99], s[6:7], v[74:75]
	v_fma_f64 v[74:75], v[98:99], s[6:7], -v[74:75]
	v_add_f64_e32 v[42:43], v[159:160], v[42:43]
	v_add_f64_e32 v[32:33], v[163:164], v[32:33]
	;; [unrolled: 1-line block ×5, first 2 shown]
	v_fma_f64 v[38:39], v[96:97], s[28:29], v[223:224]
	v_add_f64_e32 v[4:5], v[187:188], v[4:5]
	v_fma_f64 v[96:97], v[98:99], s[16:17], v[213:214]
	v_add_f64_e32 v[28:29], v[28:29], v[40:41]
	v_add_f64_e32 v[12:13], v[12:13], v[110:111]
	;; [unrolled: 1-line block ×5, first 2 shown]
	v_fma_f64 v[119:120], v[98:99], s[14:15], v[56:57]
	v_add_f64_e32 v[62:63], v[155:156], v[78:79]
	v_add_f64_e32 v[50:51], v[60:61], v[50:51]
	;; [unrolled: 1-line block ×6, first 2 shown]
	v_fma_f64 v[115:116], v[98:99], s[16:17], -v[213:214]
	v_fma_f64 v[56:57], v[98:99], s[14:15], -v[56:57]
	v_fma_f64 v[121:122], v[98:99], s[18:19], v[171:172]
	v_fma_f64 v[125:126], v[98:99], s[18:19], -v[171:172]
	v_fma_f64 v[127:128], v[98:99], s[12:13], v[90:91]
	v_fma_f64 v[90:91], v[98:99], s[12:13], -v[90:91]
	v_add_f64_e32 v[8:9], v[8:9], v[16:17]
	v_add_f64_e32 v[137:138], v[253:254], v[211:212]
	;; [unrolled: 1-line block ×12, first 2 shown]
	scratch_load_b32 v96, off, off offset:8 ; 4-byte Folded Reload
	v_add_f64_e32 v[46:47], v[80:81], v[12:13]
	scratch_load_b64 v[12:13], off, off offset:12 th:TH_LOAD_LU ; 8-byte Folded Reload
	v_add_f64_e32 v[14:15], v[14:15], v[68:69]
	v_add_f64_e32 v[44:45], v[44:45], v[117:118]
	;; [unrolled: 1-line block ×26, first 2 shown]
	v_add_nc_u32_e32 v57, 0x186, v100
	v_add_f64_e32 v[48:49], v[90:91], v[84:85]
	v_add_f64_e32 v[72:73], v[173:174], v[6:7]
	;; [unrolled: 1-line block ×8, first 2 shown]
	scratch_load_b64 v[94:95], off, off     ; 8-byte Folded Reload
	v_add_f64_e32 v[32:33], v[125:126], v[50:51]
	v_add_f64_e32 v[2:3], v[167:168], v[16:17]
	;; [unrolled: 1-line block ×7, first 2 shown]
	v_lshrrev_b32_e32 v52, 2, v100
	v_and_b32_e32 v53, 3, v100
	s_delay_alu instid0(VALU_DEP_2) | instskip(NEXT) | instid1(VALU_DEP_1)
	v_mul_u32_u24_e32 v52, 52, v52
	v_or_b32_e32 v52, v52, v53
	v_add_f64_e32 v[8:9], v[249:250], v[72:73]
	s_delay_alu instid0(VALU_DEP_2) | instskip(NEXT) | instid1(VALU_DEP_1)
	v_lshlrev_b32_e32 v52, 4, v52
	v_add3_u32 v52, 0, v52, v113
	s_wait_loadcnt 0x1
	v_add_f64_e32 v[14:15], v[86:87], v[12:13]
	scratch_load_b64 v[12:13], off, off offset:20 th:TH_LOAD_LU ; 8-byte Folded Reload
	s_wait_loadcnt 0x0
	v_add_f64_e32 v[12:13], v[92:93], v[12:13]
	ds_store_b128 v52, v[32:35] offset:128
	ds_store_b128 v52, v[28:31] offset:192
	;; [unrolled: 1-line block ×11, first 2 shown]
	ds_store_b128 v52, v[12:15]
	ds_store_b128 v52, v[44:47] offset:768
.LBB0_20:
	s_or_b32 exec_lo, exec_lo, s33
	v_dual_mov_b32 v1, 0 :: v_dual_and_b32 v4, 0xff, v114
	v_and_b32_e32 v5, 0xff, v105
	v_and_b32_e32 v6, 0xffff, v107
	s_delay_alu instid0(VALU_DEP_3) | instskip(NEXT) | instid1(VALU_DEP_4)
	v_dual_mov_b32 v110, v1 :: v_dual_and_b32 v7, 0xffff, v57
	v_mul_lo_u16 v4, 0x4f, v4
	s_delay_alu instid0(VALU_DEP_4)
	v_mul_lo_u16 v70, 0x4f, v5
	v_and_b32_e32 v5, 0xffff, v255
	v_subrev_nc_u32_e32 v0, 52, v100
	v_cmp_gt_u32_e64 s0, 52, v100
	v_lshrrev_b16 v71, 12, v4
	v_mul_u32_u24_e32 v72, 0x4ec5, v6
	v_lshrrev_b16 v73, 12, v70
	v_mul_u32_u24_e32 v4, 0x4ec5, v5
	v_mul_u32_u24_e32 v5, 0x4ec5, v7
	s_wait_alu 0xf1ff
	v_cndmask_b32_e64 v0, v0, v100, s0
	v_mul_lo_u16 v6, v71, 52
	v_lshrrev_b32_e32 v74, 20, v72
	v_mul_lo_u16 v7, v73, 52
	v_lshrrev_b32_e32 v75, 20, v4
	v_lshrrev_b32_e32 v76, 20, v5
	v_lshlrev_b64_e32 v[2:3], 4, v[0:1]
	v_sub_nc_u16 v4, v114, v6
	v_mul_lo_u16 v5, v74, 52
	v_sub_nc_u16 v6, v105, v7
	v_mul_lo_u16 v7, v75, 52
	v_mul_lo_u16 v8, v76, 52
	v_and_b32_e32 v4, 0xff, v4
	v_sub_nc_u16 v5, v107, v5
	v_add_co_u32 v2, s0, s4, v2
	v_and_b32_e32 v6, 0xff, v6
	v_sub_nc_u16 v7, v255, v7
	s_wait_alu 0xf1ff
	v_add_co_ci_u32_e64 v3, s0, s5, v3, s0
	v_sub_nc_u16 v8, v57, v8
	v_lshlrev_b32_e32 v77, 4, v4
	v_and_b32_e32 v9, 0xffff, v5
	v_lshlrev_b32_e32 v78, 4, v6
	v_and_b32_e32 v10, 0xffff, v7
	global_wb scope:SCOPE_SE
	s_wait_storecnt_dscnt 0x0
	s_barrier_signal -1
	s_barrier_wait -1
	global_inv scope:SCOPE_SE
	v_and_b32_e32 v14, 0xffff, v8
	global_load_b128 v[2:5], v[2:3], off offset:800
	v_lshlrev_b32_e32 v79, 4, v9
	global_load_b128 v[6:9], v77, s[4:5] offset:800
	v_lshlrev_b32_e32 v80, 4, v10
	global_load_b128 v[10:13], v78, s[4:5] offset:800
	v_lshlrev_b32_e32 v81, 4, v14
	s_clause 0x2
	global_load_b128 v[14:17], v79, s[4:5] offset:800
	global_load_b128 v[18:21], v80, s[4:5] offset:800
	;; [unrolled: 1-line block ×3, first 2 shown]
	ds_load_b128 v[26:29], v101 offset:7488
	ds_load_b128 v[30:33], v101 offset:8736
	;; [unrolled: 1-line block ×6, first 2 shown]
	v_cmp_lt_u32_e64 s0, 51, v100
	s_mov_b32 s2, 0xe8584caa
	s_mov_b32 s3, 0x3febb67a
	s_mov_b32 s7, 0xbfebb67a
	s_wait_alu 0xfffe
	s_mov_b32 s6, s2
	s_wait_loadcnt_dscnt 0x505
	v_mul_f64_e32 v[50:51], v[28:29], v[4:5]
	v_mul_f64_e32 v[4:5], v[26:27], v[4:5]
	s_wait_loadcnt_dscnt 0x404
	v_mul_f64_e32 v[52:53], v[32:33], v[8:9]
	v_mul_f64_e32 v[8:9], v[30:31], v[8:9]
	;; [unrolled: 3-line block ×6, first 2 shown]
	v_fma_f64 v[50:51], v[26:27], v[2:3], -v[50:51]
	v_fma_f64 v[2:3], v[28:29], v[2:3], v[4:5]
	v_fma_f64 v[4:5], v[30:31], v[6:7], -v[52:53]
	v_fma_f64 v[52:53], v[32:33], v[6:7], v[8:9]
	v_fma_f64 v[54:55], v[34:35], v[10:11], -v[54:55]
	v_fma_f64 v[62:63], v[36:37], v[10:11], v[12:13]
	v_fma_f64 v[56:57], v[38:39], v[14:15], -v[56:57]
	v_fma_f64 v[64:65], v[40:41], v[14:15], v[16:17]
	v_fma_f64 v[58:59], v[42:43], v[18:19], -v[58:59]
	v_fma_f64 v[66:67], v[44:45], v[18:19], v[20:21]
	v_fma_f64 v[60:61], v[46:47], v[22:23], -v[60:61]
	v_fma_f64 v[68:69], v[48:49], v[22:23], v[24:25]
	ds_load_b128 v[6:9], v112
	ds_load_b128 v[10:13], v101 offset:1248
	ds_load_b128 v[14:17], v101 offset:2496
	ds_load_b128 v[18:21], v101 offset:3744
	ds_load_b128 v[22:25], v101 offset:4992
	ds_load_b128 v[26:29], v101 offset:6240
	global_wb scope:SCOPE_SE
	s_wait_dscnt 0x0
	s_barrier_signal -1
	s_barrier_wait -1
	global_inv scope:SCOPE_SE
	v_add_f64_e64 v[30:31], v[6:7], -v[50:51]
	v_add_f64_e64 v[32:33], v[8:9], -v[2:3]
	;; [unrolled: 1-line block ×12, first 2 shown]
	v_subrev_nc_u32_e32 v2, 26, v100
	v_cndmask_b32_e64 v3, 0, 0x680, s0
	v_cmp_gt_u32_e64 s0, 26, v100
	v_lshlrev_b32_e32 v55, 4, v0
	v_lshrrev_b16 v5, 13, v70
	v_lshrrev_b32_e32 v56, 21, v72
	v_add_nc_u32_e32 v54, 0, v3
	s_wait_alu 0xf1ff
	v_cndmask_b32_e64 v4, v2, v114, s0
	v_lshlrev_b64_e32 v[2:3], 4, v[109:110]
	v_and_b32_e32 v58, 0xffff, v71
	v_and_b32_e32 v59, 0xffff, v73
	v_add3_u32 v57, v54, v55, v113
	v_lshlrev_b32_e32 v0, 1, v4
	v_mul_lo_u16 v56, 0x68, v56
	v_mad_u32_u24 v58, 0x680, v58, 0
	v_add_co_u32 v2, s0, s4, v2
	s_delay_alu instid0(VALU_DEP_4)
	v_lshlrev_b64_e32 v[54:55], 4, v[0:1]
	v_mul_lo_u16 v0, 0x68, v5
	v_mad_u32_u24 v59, 0x680, v59, 0
	v_mad_u32_u24 v60, 0x680, v74, 0
	;; [unrolled: 1-line block ×4, first 2 shown]
	v_sub_nc_u16 v0, v105, v0
	s_wait_alu 0xf1ff
	v_add_co_ci_u32_e64 v3, s0, s5, v3, s0
	v_fma_f64 v[6:7], v[6:7], 2.0, -v[30:31]
	v_fma_f64 v[8:9], v[8:9], 2.0, -v[32:33]
	;; [unrolled: 1-line block ×12, first 2 shown]
	v_sub_nc_u16 v56, v107, v56
	v_add_co_u32 v54, s0, s4, v54
	v_add3_u32 v58, v58, v77, v113
	s_wait_alu 0xf1ff
	v_add_co_ci_u32_e64 v55, s0, s5, v55, s0
	v_and_b32_e32 v0, 0xff, v0
	v_add3_u32 v59, v59, v78, v113
	v_add3_u32 v60, v60, v79, v113
	;; [unrolled: 1-line block ×4, first 2 shown]
	v_cmp_lt_u32_e64 s0, 25, v100
	v_mov_b32_e32 v105, v1
	ds_store_b128 v57, v[6:9]
	ds_store_b128 v57, v[30:33] offset:832
	ds_store_b128 v58, v[10:13]
	ds_store_b128 v58, v[34:37] offset:832
	;; [unrolled: 2-line block ×6, first 2 shown]
	global_wb scope:SCOPE_SE
	s_wait_dscnt 0x0
	s_barrier_signal -1
	s_barrier_wait -1
	global_inv scope:SCOPE_SE
	s_clause 0x1
	global_load_b128 v[7:10], v[2:3], off offset:1632
	global_load_b128 v[11:14], v[2:3], off offset:1648
	v_and_b32_e32 v6, 0xffff, v56
	v_lshlrev_b32_e32 v27, 5, v0
	s_clause 0x1
	global_load_b128 v[15:18], v[54:55], off offset:1632
	global_load_b128 v[19:22], v[54:55], off offset:1648
	s_wait_alu 0xf1ff
	v_cndmask_b32_e64 v93, 0, 0x1380, s0
	v_mov_b32_e32 v109, v1
	v_lshlrev_b32_e32 v35, 5, v6
	s_clause 0x3
	global_load_b128 v[23:26], v27, s[4:5] offset:1632
	global_load_b128 v[27:30], v27, s[4:5] offset:1648
	;; [unrolled: 1-line block ×4, first 2 shown]
	ds_load_b128 v[39:42], v101 offset:4992
	ds_load_b128 v[43:46], v101 offset:9984
	;; [unrolled: 1-line block ×8, first 2 shown]
	v_dual_mov_b32 v107, v1 :: v_dual_lshlrev_b32 v6, 4, v6
	v_lshlrev_b32_e32 v0, 4, v0
	s_wait_loadcnt_dscnt 0x707
	v_mul_f64_e32 v[71:72], v[41:42], v[9:10]
	v_mul_f64_e32 v[9:10], v[39:40], v[9:10]
	s_wait_loadcnt_dscnt 0x606
	v_mul_f64_e32 v[73:74], v[45:46], v[13:14]
	v_mul_f64_e32 v[13:14], v[43:44], v[13:14]
	;; [unrolled: 3-line block ×8, first 2 shown]
	v_fma_f64 v[39:40], v[39:40], v[7:8], -v[71:72]
	v_fma_f64 v[41:42], v[41:42], v[7:8], v[9:10]
	v_fma_f64 v[43:44], v[43:44], v[11:12], -v[73:74]
	v_fma_f64 v[45:46], v[45:46], v[11:12], v[13:14]
	;; [unrolled: 2-line block ×8, first 2 shown]
	ds_load_b128 v[7:10], v112
	ds_load_b128 v[11:14], v101 offset:1248
	ds_load_b128 v[15:18], v101 offset:2496
	;; [unrolled: 1-line block ×3, first 2 shown]
	global_wb scope:SCOPE_SE
	s_wait_dscnt 0x0
	s_barrier_signal -1
	s_barrier_wait -1
	global_inv scope:SCOPE_SE
	v_add_f64_e32 v[71:72], v[7:8], v[39:40]
	v_add_f64_e32 v[37:38], v[39:40], v[43:44]
	;; [unrolled: 1-line block ×3, first 2 shown]
	v_add_f64_e64 v[73:74], v[41:42], -v[45:46]
	v_add_f64_e32 v[41:42], v[9:10], v[41:42]
	v_add_f64_e32 v[59:60], v[47:48], v[51:52]
	;; [unrolled: 1-line block ×4, first 2 shown]
	v_add_f64_e64 v[39:40], v[39:40], -v[43:44]
	v_add_f64_e32 v[63:64], v[55:56], v[25:26]
	v_add_f64_e32 v[65:66], v[23:24], v[27:28]
	;; [unrolled: 1-line block ×8, first 2 shown]
	v_add_f64_e64 v[49:50], v[49:50], -v[53:54]
	v_add_f64_e64 v[47:48], v[47:48], -v[51:52]
	v_add_f64_e32 v[85:86], v[21:22], v[31:32]
	v_add_f64_e64 v[87:88], v[23:24], -v[27:28]
	v_add_f64_e64 v[55:56], v[55:56], -v[25:26]
	;; [unrolled: 1-line block ×4, first 2 shown]
	v_fma_f64 v[37:38], v[37:38], -0.5, v[7:8]
	v_fma_f64 v[57:58], v[57:58], -0.5, v[9:10]
	v_add_f64_e32 v[7:8], v[71:72], v[43:44]
	v_add_f64_e32 v[9:10], v[41:42], v[45:46]
	v_fma_f64 v[59:60], v[59:60], -0.5, v[11:12]
	v_fma_f64 v[61:62], v[61:62], -0.5, v[13:14]
	;; [unrolled: 1-line block ×4, first 2 shown]
	v_add_f64_e32 v[15:16], v[79:80], v[25:26]
	v_add_f64_e32 v[17:18], v[81:82], v[27:28]
	v_fma_f64 v[67:68], v[67:68], -0.5, v[19:20]
	v_fma_f64 v[69:70], v[69:70], -0.5, v[21:22]
	v_add_f64_e32 v[11:12], v[75:76], v[51:52]
	v_add_f64_e32 v[13:14], v[77:78], v[53:54]
	;; [unrolled: 1-line block ×4, first 2 shown]
	v_fma_f64 v[23:24], v[73:74], s[2:3], v[37:38]
	s_wait_alu 0xfffe
	v_fma_f64 v[25:26], v[39:40], s[6:7], v[57:58]
	v_fma_f64 v[27:28], v[73:74], s[6:7], v[37:38]
	;; [unrolled: 1-line block ×15, first 2 shown]
	v_and_b32_e32 v61, 0xffff, v5
	v_lshlrev_b32_e32 v60, 4, v4
	v_lshlrev_b64_e32 v[4:5], 4, v[104:105]
	v_add_nc_u32_e32 v59, 0, v93
	v_lshlrev_b64_e32 v[55:56], 4, v[108:109]
	v_mad_u32_u24 v61, 0x1380, v61, 0
	v_lshlrev_b64_e32 v[57:58], 4, v[106:107]
	s_delay_alu instid0(VALU_DEP_4)
	v_add3_u32 v62, v59, v60, v113
	v_add_co_u32 v59, s0, s4, v4
	s_wait_alu 0xf1ff
	v_add_co_ci_u32_e64 v60, s0, s5, v5, s0
	v_add3_u32 v4, 0, v6, v113
	v_add3_u32 v0, v61, v0, v113
	ds_store_b128 v101, v[7:10]
	ds_store_b128 v101, v[23:26] offset:1664
	ds_store_b128 v101, v[27:30] offset:3328
	ds_store_b128 v62, v[11:14]
	ds_store_b128 v62, v[31:34] offset:1664
	ds_store_b128 v62, v[35:38] offset:3328
	;; [unrolled: 3-line block ×3, first 2 shown]
	ds_store_b128 v4, v[19:22] offset:9984
	ds_store_b128 v4, v[47:50] offset:11648
	;; [unrolled: 1-line block ×3, first 2 shown]
	global_wb scope:SCOPE_SE
	s_wait_dscnt 0x0
	s_barrier_signal -1
	s_barrier_wait -1
	global_inv scope:SCOPE_SE
	s_clause 0x1
	global_load_b128 v[4:7], v[2:3], off offset:4976
	global_load_b128 v[8:11], v[2:3], off offset:4960
	v_add_co_u32 v2, s0, s4, v55
	s_wait_alu 0xf1ff
	v_add_co_ci_u32_e64 v3, s0, s5, v56, s0
	v_add_co_u32 v32, s0, s4, v57
	s_clause 0x1
	global_load_b128 v[12:15], v[59:60], off offset:4976
	global_load_b128 v[16:19], v[59:60], off offset:4960
	s_wait_alu 0xf1ff
	v_add_co_ci_u32_e64 v33, s0, s5, v58, s0
	s_clause 0x3
	global_load_b128 v[20:23], v[2:3], off offset:4960
	global_load_b128 v[24:27], v[2:3], off offset:4976
	;; [unrolled: 1-line block ×4, first 2 shown]
	ds_load_b128 v[36:39], v101 offset:4992
	ds_load_b128 v[40:43], v101 offset:9984
	;; [unrolled: 1-line block ×8, first 2 shown]
	s_wait_loadcnt_dscnt 0x706
	v_mul_f64_e32 v[68:69], v[42:43], v[6:7]
	s_wait_loadcnt 0x6
	v_mul_f64_e32 v[2:3], v[38:39], v[10:11]
	v_mul_f64_e32 v[10:11], v[36:37], v[10:11]
	v_mul_f64_e32 v[6:7], v[40:41], v[6:7]
	s_wait_loadcnt_dscnt 0x504
	v_mul_f64_e32 v[72:73], v[50:51], v[14:15]
	s_wait_loadcnt 0x4
	v_mul_f64_e32 v[70:71], v[46:47], v[18:19]
	v_mul_f64_e32 v[18:19], v[44:45], v[18:19]
	;; [unrolled: 1-line block ×3, first 2 shown]
	s_wait_loadcnt_dscnt 0x303
	v_mul_f64_e32 v[74:75], v[54:55], v[22:23]
	s_wait_loadcnt_dscnt 0x202
	v_mul_f64_e32 v[76:77], v[58:59], v[26:27]
	v_mul_f64_e32 v[22:23], v[52:53], v[22:23]
	;; [unrolled: 1-line block ×3, first 2 shown]
	s_wait_loadcnt_dscnt 0x101
	v_mul_f64_e32 v[78:79], v[62:63], v[30:31]
	v_mul_f64_e32 v[30:31], v[60:61], v[30:31]
	s_wait_loadcnt_dscnt 0x0
	v_mul_f64_e32 v[80:81], v[66:67], v[34:35]
	v_mul_f64_e32 v[34:35], v[64:65], v[34:35]
	v_fma_f64 v[40:41], v[40:41], v[4:5], -v[68:69]
	v_fma_f64 v[36:37], v[36:37], v[8:9], -v[2:3]
	v_fma_f64 v[38:39], v[38:39], v[8:9], v[10:11]
	v_fma_f64 v[42:43], v[42:43], v[4:5], v[6:7]
	ds_load_b128 v[2:5], v112
	ds_load_b128 v[6:9], v101 offset:1248
	v_fma_f64 v[44:45], v[44:45], v[16:17], -v[70:71]
	v_fma_f64 v[18:19], v[46:47], v[16:17], v[18:19]
	v_fma_f64 v[46:47], v[48:49], v[12:13], -v[72:73]
	v_fma_f64 v[48:49], v[50:51], v[12:13], v[14:15]
	v_fma_f64 v[50:51], v[52:53], v[20:21], -v[74:75]
	v_fma_f64 v[52:53], v[56:57], v[24:25], -v[76:77]
	v_fma_f64 v[20:21], v[54:55], v[20:21], v[22:23]
	v_fma_f64 v[22:23], v[58:59], v[24:25], v[26:27]
	v_fma_f64 v[24:25], v[60:61], v[28:29], -v[78:79]
	v_fma_f64 v[26:27], v[62:63], v[28:29], v[30:31]
	v_fma_f64 v[28:29], v[64:65], v[32:33], -v[80:81]
	v_fma_f64 v[30:31], v[66:67], v[32:33], v[34:35]
	ds_load_b128 v[10:13], v101 offset:2496
	ds_load_b128 v[14:17], v101 offset:3744
	global_wb scope:SCOPE_SE
	s_wait_dscnt 0x0
	s_barrier_signal -1
	s_barrier_wait -1
	global_inv scope:SCOPE_SE
	v_add_f64_e32 v[32:33], v[36:37], v[40:41]
	v_add_f64_e32 v[66:67], v[2:3], v[36:37]
	;; [unrolled: 1-line block ×3, first 2 shown]
	v_add_f64_e64 v[68:69], v[38:39], -v[42:43]
	v_add_f64_e32 v[38:39], v[4:5], v[38:39]
	v_add_f64_e64 v[36:37], v[36:37], -v[40:41]
	v_add_f64_e32 v[70:71], v[6:7], v[44:45]
	v_add_f64_e32 v[72:73], v[8:9], v[18:19]
	;; [unrolled: 1-line block ×12, first 2 shown]
	v_add_f64_e64 v[82:83], v[18:19], -v[48:49]
	v_add_f64_e64 v[44:45], v[44:45], -v[46:47]
	;; [unrolled: 1-line block ×6, first 2 shown]
	v_fma_f64 v[32:33], v[32:33], -0.5, v[2:3]
	v_add_f64_e32 v[2:3], v[66:67], v[40:41]
	v_fma_f64 v[34:35], v[34:35], -0.5, v[4:5]
	v_add_f64_e32 v[4:5], v[38:39], v[42:43]
	v_fma_f64 v[54:55], v[54:55], -0.5, v[6:7]
	v_fma_f64 v[56:57], v[56:57], -0.5, v[8:9]
	v_add_f64_e32 v[6:7], v[70:71], v[46:47]
	v_fma_f64 v[58:59], v[58:59], -0.5, v[10:11]
	v_add_f64_e32 v[8:9], v[72:73], v[48:49]
	;; [unrolled: 2-line block ×3, first 2 shown]
	v_add_f64_e32 v[12:13], v[76:77], v[22:23]
	v_fma_f64 v[62:63], v[62:63], -0.5, v[14:15]
	v_fma_f64 v[64:65], v[64:65], -0.5, v[16:17]
	v_add_f64_e32 v[14:15], v[78:79], v[28:29]
	v_add_f64_e32 v[16:17], v[80:81], v[30:31]
	v_fma_f64 v[18:19], v[68:69], s[2:3], v[32:33]
	v_fma_f64 v[22:23], v[68:69], s[6:7], v[32:33]
	;; [unrolled: 1-line block ×16, first 2 shown]
	ds_store_b128 v101, v[2:5]
	ds_store_b128 v101, v[6:9] offset:1248
	ds_store_b128 v101, v[10:13] offset:2496
	;; [unrolled: 1-line block ×11, first 2 shown]
	global_wb scope:SCOPE_SE
	s_wait_dscnt 0x0
	s_barrier_signal -1
	s_barrier_wait -1
	global_inv scope:SCOPE_SE
	s_and_saveexec_b32 s0, vcc_lo
	s_cbranch_execz .LBB0_22
; %bb.21:
	v_lshl_add_u32 v36, v100, 4, v96
	v_dual_mov_b32 v101, v1 :: v_dual_add_nc_u32 v0, 0x4e, v100
	v_add_co_u32 v37, vcc_lo, s8, v94
	ds_load_b128 v[2:5], v36
	ds_load_b128 v[6:9], v36 offset:1248
	v_lshlrev_b64_e32 v[10:11], 4, v[100:101]
	v_lshlrev_b64_e32 v[12:13], 4, v[0:1]
	v_add_nc_u32_e32 v0, 0x9c, v100
	s_wait_alu 0xfffd
	v_add_co_ci_u32_e32 v38, vcc_lo, s9, v95, vcc_lo
	s_delay_alu instid0(VALU_DEP_4) | instskip(NEXT) | instid1(VALU_DEP_3)
	v_add_co_u32 v10, vcc_lo, v37, v10
	v_lshlrev_b64_e32 v[14:15], 4, v[0:1]
	s_wait_alu 0xfffd
	s_delay_alu instid0(VALU_DEP_3)
	v_add_co_ci_u32_e32 v11, vcc_lo, v38, v11, vcc_lo
	v_add_co_u32 v12, vcc_lo, v37, v12
	v_add_nc_u32_e32 v0, 0xea, v100
	s_wait_alu 0xfffd
	v_add_co_ci_u32_e32 v13, vcc_lo, v38, v13, vcc_lo
	v_add_co_u32 v20, vcc_lo, v37, v14
	s_delay_alu instid0(VALU_DEP_3)
	v_lshlrev_b64_e32 v[18:19], 4, v[0:1]
	s_wait_dscnt 0x1
	global_store_b128 v[10:11], v[2:5], off
	s_wait_dscnt 0x0
	global_store_b128 v[12:13], v[6:9], off
	v_add_nc_u32_e32 v0, 0x138, v100
	s_wait_alu 0xfffd
	v_add_co_ci_u32_e32 v21, vcc_lo, v38, v15, vcc_lo
	ds_load_b128 v[2:5], v36 offset:2496
	ds_load_b128 v[6:9], v36 offset:3744
	;; [unrolled: 1-line block ×4, first 2 shown]
	v_lshlrev_b64_e32 v[22:23], 4, v[0:1]
	v_add_nc_u32_e32 v0, 0x186, v100
	v_add_co_u32 v18, vcc_lo, v37, v18
	s_wait_alu 0xfffd
	v_add_co_ci_u32_e32 v19, vcc_lo, v38, v19, vcc_lo
	s_delay_alu instid0(VALU_DEP_3) | instskip(SKIP_4) | instid1(VALU_DEP_3)
	v_lshlrev_b64_e32 v[24:25], 4, v[0:1]
	v_add_nc_u32_e32 v0, 0x1d4, v100
	v_add_co_u32 v22, vcc_lo, v37, v22
	s_wait_alu 0xfffd
	v_add_co_ci_u32_e32 v23, vcc_lo, v38, v23, vcc_lo
	v_lshlrev_b64_e32 v[26:27], 4, v[0:1]
	v_add_nc_u32_e32 v0, 0x222, v100
	v_add_co_u32 v24, vcc_lo, v37, v24
	s_wait_alu 0xfffd
	v_add_co_ci_u32_e32 v25, vcc_lo, v38, v25, vcc_lo
	s_wait_dscnt 0x3
	global_store_b128 v[20:21], v[2:5], off
	s_wait_dscnt 0x2
	global_store_b128 v[18:19], v[6:9], off
	;; [unrolled: 2-line block ×4, first 2 shown]
	v_lshlrev_b64_e32 v[10:11], 4, v[0:1]
	v_add_nc_u32_e32 v0, 0x270, v100
	v_add_co_u32 v26, vcc_lo, v37, v26
	s_wait_alu 0xfffd
	v_add_co_ci_u32_e32 v27, vcc_lo, v38, v27, vcc_lo
	s_delay_alu instid0(VALU_DEP_3) | instskip(SKIP_4) | instid1(VALU_DEP_4)
	v_lshlrev_b64_e32 v[12:13], 4, v[0:1]
	v_add_co_u32 v28, vcc_lo, v37, v10
	v_add_nc_u32_e32 v0, 0x2be, v100
	s_wait_alu 0xfffd
	v_add_co_ci_u32_e32 v29, vcc_lo, v38, v11, vcc_lo
	v_add_co_u32 v32, vcc_lo, v37, v12
	ds_load_b128 v[2:5], v36 offset:7488
	ds_load_b128 v[6:9], v36 offset:8736
	s_wait_alu 0xfffd
	v_add_co_ci_u32_e32 v33, vcc_lo, v38, v13, vcc_lo
	ds_load_b128 v[10:13], v36 offset:9984
	ds_load_b128 v[14:17], v36 offset:11232
	;; [unrolled: 1-line block ×4, first 2 shown]
	v_lshlrev_b64_e32 v[30:31], 4, v[0:1]
	v_add_nc_u32_e32 v0, 0x30c, v100
	s_delay_alu instid0(VALU_DEP_1) | instskip(SKIP_1) | instid1(VALU_DEP_4)
	v_lshlrev_b64_e32 v[34:35], 4, v[0:1]
	v_add_nc_u32_e32 v0, 0x35a, v100
	v_add_co_u32 v30, vcc_lo, v37, v30
	s_wait_alu 0xfffd
	v_add_co_ci_u32_e32 v31, vcc_lo, v38, v31, vcc_lo
	s_delay_alu instid0(VALU_DEP_3) | instskip(SKIP_3) | instid1(VALU_DEP_3)
	v_lshlrev_b64_e32 v[0:1], 4, v[0:1]
	v_add_co_u32 v34, vcc_lo, v37, v34
	s_wait_alu 0xfffd
	v_add_co_ci_u32_e32 v35, vcc_lo, v38, v35, vcc_lo
	v_add_co_u32 v0, vcc_lo, v37, v0
	s_wait_alu 0xfffd
	v_add_co_ci_u32_e32 v1, vcc_lo, v38, v1, vcc_lo
	s_wait_dscnt 0x5
	global_store_b128 v[26:27], v[2:5], off
	s_wait_dscnt 0x4
	global_store_b128 v[28:29], v[6:9], off
	;; [unrolled: 2-line block ×6, first 2 shown]
.LBB0_22:
	s_nop 0
	s_sendmsg sendmsg(MSG_DEALLOC_VGPRS)
	s_endpgm
	.section	.rodata,"a",@progbits
	.p2align	6, 0x0
	.amdhsa_kernel fft_rtc_fwd_len936_factors_2_2_13_2_3_3_wgs_234_tpt_78_halfLds_dp_ip_CI_unitstride_sbrr_C2R_dirReg
		.amdhsa_group_segment_fixed_size 0
		.amdhsa_private_segment_fixed_size 32
		.amdhsa_kernarg_size 88
		.amdhsa_user_sgpr_count 2
		.amdhsa_user_sgpr_dispatch_ptr 0
		.amdhsa_user_sgpr_queue_ptr 0
		.amdhsa_user_sgpr_kernarg_segment_ptr 1
		.amdhsa_user_sgpr_dispatch_id 0
		.amdhsa_user_sgpr_private_segment_size 0
		.amdhsa_wavefront_size32 1
		.amdhsa_uses_dynamic_stack 0
		.amdhsa_enable_private_segment 1
		.amdhsa_system_sgpr_workgroup_id_x 1
		.amdhsa_system_sgpr_workgroup_id_y 0
		.amdhsa_system_sgpr_workgroup_id_z 0
		.amdhsa_system_sgpr_workgroup_info 0
		.amdhsa_system_vgpr_workitem_id 0
		.amdhsa_next_free_vgpr 256
		.amdhsa_next_free_sgpr 42
		.amdhsa_reserve_vcc 1
		.amdhsa_float_round_mode_32 0
		.amdhsa_float_round_mode_16_64 0
		.amdhsa_float_denorm_mode_32 3
		.amdhsa_float_denorm_mode_16_64 3
		.amdhsa_fp16_overflow 0
		.amdhsa_workgroup_processor_mode 1
		.amdhsa_memory_ordered 1
		.amdhsa_forward_progress 0
		.amdhsa_round_robin_scheduling 0
		.amdhsa_exception_fp_ieee_invalid_op 0
		.amdhsa_exception_fp_denorm_src 0
		.amdhsa_exception_fp_ieee_div_zero 0
		.amdhsa_exception_fp_ieee_overflow 0
		.amdhsa_exception_fp_ieee_underflow 0
		.amdhsa_exception_fp_ieee_inexact 0
		.amdhsa_exception_int_div_zero 0
	.end_amdhsa_kernel
	.text
.Lfunc_end0:
	.size	fft_rtc_fwd_len936_factors_2_2_13_2_3_3_wgs_234_tpt_78_halfLds_dp_ip_CI_unitstride_sbrr_C2R_dirReg, .Lfunc_end0-fft_rtc_fwd_len936_factors_2_2_13_2_3_3_wgs_234_tpt_78_halfLds_dp_ip_CI_unitstride_sbrr_C2R_dirReg
                                        ; -- End function
	.section	.AMDGPU.csdata,"",@progbits
; Kernel info:
; codeLenInByte = 11976
; NumSgprs: 44
; NumVgprs: 256
; ScratchSize: 32
; MemoryBound: 0
; FloatMode: 240
; IeeeMode: 1
; LDSByteSize: 0 bytes/workgroup (compile time only)
; SGPRBlocks: 5
; VGPRBlocks: 31
; NumSGPRsForWavesPerEU: 44
; NumVGPRsForWavesPerEU: 256
; Occupancy: 5
; WaveLimiterHint : 1
; COMPUTE_PGM_RSRC2:SCRATCH_EN: 1
; COMPUTE_PGM_RSRC2:USER_SGPR: 2
; COMPUTE_PGM_RSRC2:TRAP_HANDLER: 0
; COMPUTE_PGM_RSRC2:TGID_X_EN: 1
; COMPUTE_PGM_RSRC2:TGID_Y_EN: 0
; COMPUTE_PGM_RSRC2:TGID_Z_EN: 0
; COMPUTE_PGM_RSRC2:TIDIG_COMP_CNT: 0
	.text
	.p2alignl 7, 3214868480
	.fill 96, 4, 3214868480
	.type	__hip_cuid_8be9f49b59a86518,@object ; @__hip_cuid_8be9f49b59a86518
	.section	.bss,"aw",@nobits
	.globl	__hip_cuid_8be9f49b59a86518
__hip_cuid_8be9f49b59a86518:
	.byte	0                               ; 0x0
	.size	__hip_cuid_8be9f49b59a86518, 1

	.ident	"AMD clang version 19.0.0git (https://github.com/RadeonOpenCompute/llvm-project roc-6.4.0 25133 c7fe45cf4b819c5991fe208aaa96edf142730f1d)"
	.section	".note.GNU-stack","",@progbits
	.addrsig
	.addrsig_sym __hip_cuid_8be9f49b59a86518
	.amdgpu_metadata
---
amdhsa.kernels:
  - .args:
      - .actual_access:  read_only
        .address_space:  global
        .offset:         0
        .size:           8
        .value_kind:     global_buffer
      - .offset:         8
        .size:           8
        .value_kind:     by_value
      - .actual_access:  read_only
        .address_space:  global
        .offset:         16
        .size:           8
        .value_kind:     global_buffer
      - .actual_access:  read_only
        .address_space:  global
        .offset:         24
        .size:           8
        .value_kind:     global_buffer
      - .offset:         32
        .size:           8
        .value_kind:     by_value
      - .actual_access:  read_only
        .address_space:  global
        .offset:         40
        .size:           8
        .value_kind:     global_buffer
      - .actual_access:  read_only
        .address_space:  global
        .offset:         48
        .size:           8
        .value_kind:     global_buffer
      - .offset:         56
        .size:           4
        .value_kind:     by_value
      - .actual_access:  read_only
        .address_space:  global
        .offset:         64
        .size:           8
        .value_kind:     global_buffer
      - .actual_access:  read_only
        .address_space:  global
        .offset:         72
        .size:           8
        .value_kind:     global_buffer
      - .address_space:  global
        .offset:         80
        .size:           8
        .value_kind:     global_buffer
    .group_segment_fixed_size: 0
    .kernarg_segment_align: 8
    .kernarg_segment_size: 88
    .language:       OpenCL C
    .language_version:
      - 2
      - 0
    .max_flat_workgroup_size: 234
    .name:           fft_rtc_fwd_len936_factors_2_2_13_2_3_3_wgs_234_tpt_78_halfLds_dp_ip_CI_unitstride_sbrr_C2R_dirReg
    .private_segment_fixed_size: 32
    .sgpr_count:     44
    .sgpr_spill_count: 0
    .symbol:         fft_rtc_fwd_len936_factors_2_2_13_2_3_3_wgs_234_tpt_78_halfLds_dp_ip_CI_unitstride_sbrr_C2R_dirReg.kd
    .uniform_work_group_size: 1
    .uses_dynamic_stack: false
    .vgpr_count:     256
    .vgpr_spill_count: 7
    .wavefront_size: 32
    .workgroup_processor_mode: 1
amdhsa.target:   amdgcn-amd-amdhsa--gfx1201
amdhsa.version:
  - 1
  - 2
...

	.end_amdgpu_metadata
